;; amdgpu-corpus repo=ROCm/rocFFT kind=compiled arch=gfx906 opt=O3
	.text
	.amdgcn_target "amdgcn-amd-amdhsa--gfx906"
	.amdhsa_code_object_version 6
	.protected	fft_rtc_back_len1080_factors_6_10_6_3_wgs_216_tpt_108_halfLds_half_ip_CI_unitstride_sbrr_C2R_dirReg ; -- Begin function fft_rtc_back_len1080_factors_6_10_6_3_wgs_216_tpt_108_halfLds_half_ip_CI_unitstride_sbrr_C2R_dirReg
	.globl	fft_rtc_back_len1080_factors_6_10_6_3_wgs_216_tpt_108_halfLds_half_ip_CI_unitstride_sbrr_C2R_dirReg
	.p2align	8
	.type	fft_rtc_back_len1080_factors_6_10_6_3_wgs_216_tpt_108_halfLds_half_ip_CI_unitstride_sbrr_C2R_dirReg,@function
fft_rtc_back_len1080_factors_6_10_6_3_wgs_216_tpt_108_halfLds_half_ip_CI_unitstride_sbrr_C2R_dirReg: ; @fft_rtc_back_len1080_factors_6_10_6_3_wgs_216_tpt_108_halfLds_half_ip_CI_unitstride_sbrr_C2R_dirReg
; %bb.0:
	s_load_dwordx2 s[12:13], s[4:5], 0x50
	s_load_dwordx4 s[8:11], s[4:5], 0x0
	s_load_dwordx2 s[2:3], s[4:5], 0x18
	v_mul_u32_u24_e32 v1, 0x25f, v0
	v_lshrrev_b32_e32 v9, 16, v1
	v_mov_b32_e32 v3, 0
	s_waitcnt lgkmcnt(0)
	v_cmp_lt_u64_e64 s[0:1], s[10:11], 2
	v_mov_b32_e32 v1, 0
	v_lshl_add_u32 v5, s6, 1, v9
	v_mov_b32_e32 v6, v3
	s_and_b64 vcc, exec, s[0:1]
	v_mov_b32_e32 v2, 0
	s_cbranch_vccnz .LBB0_8
; %bb.1:
	s_load_dwordx2 s[0:1], s[4:5], 0x10
	s_add_u32 s6, s2, 8
	s_addc_u32 s7, s3, 0
	v_mov_b32_e32 v1, 0
	v_mov_b32_e32 v2, 0
	s_waitcnt lgkmcnt(0)
	s_add_u32 s14, s0, 8
	s_addc_u32 s15, s1, 0
	s_mov_b64 s[16:17], 1
.LBB0_2:                                ; =>This Inner Loop Header: Depth=1
	s_load_dwordx2 s[18:19], s[14:15], 0x0
                                        ; implicit-def: $vgpr7_vgpr8
	s_waitcnt lgkmcnt(0)
	v_or_b32_e32 v4, s19, v6
	v_cmp_ne_u64_e32 vcc, 0, v[3:4]
	s_and_saveexec_b64 s[0:1], vcc
	s_xor_b64 s[20:21], exec, s[0:1]
	s_cbranch_execz .LBB0_4
; %bb.3:                                ;   in Loop: Header=BB0_2 Depth=1
	v_cvt_f32_u32_e32 v4, s18
	v_cvt_f32_u32_e32 v7, s19
	s_sub_u32 s0, 0, s18
	s_subb_u32 s1, 0, s19
	v_mac_f32_e32 v4, 0x4f800000, v7
	v_rcp_f32_e32 v4, v4
	v_mul_f32_e32 v4, 0x5f7ffffc, v4
	v_mul_f32_e32 v7, 0x2f800000, v4
	v_trunc_f32_e32 v7, v7
	v_mac_f32_e32 v4, 0xcf800000, v7
	v_cvt_u32_f32_e32 v7, v7
	v_cvt_u32_f32_e32 v4, v4
	v_mul_lo_u32 v8, s0, v7
	v_mul_hi_u32 v10, s0, v4
	v_mul_lo_u32 v12, s1, v4
	v_mul_lo_u32 v11, s0, v4
	v_add_u32_e32 v8, v10, v8
	v_add_u32_e32 v8, v8, v12
	v_mul_hi_u32 v10, v4, v11
	v_mul_lo_u32 v12, v4, v8
	v_mul_hi_u32 v14, v4, v8
	v_mul_hi_u32 v13, v7, v11
	v_mul_lo_u32 v11, v7, v11
	v_mul_hi_u32 v15, v7, v8
	v_add_co_u32_e32 v10, vcc, v10, v12
	v_addc_co_u32_e32 v12, vcc, 0, v14, vcc
	v_mul_lo_u32 v8, v7, v8
	v_add_co_u32_e32 v10, vcc, v10, v11
	v_addc_co_u32_e32 v10, vcc, v12, v13, vcc
	v_addc_co_u32_e32 v11, vcc, 0, v15, vcc
	v_add_co_u32_e32 v8, vcc, v10, v8
	v_addc_co_u32_e32 v10, vcc, 0, v11, vcc
	v_add_co_u32_e32 v4, vcc, v4, v8
	v_addc_co_u32_e32 v7, vcc, v7, v10, vcc
	v_mul_lo_u32 v8, s0, v7
	v_mul_hi_u32 v10, s0, v4
	v_mul_lo_u32 v11, s1, v4
	v_mul_lo_u32 v12, s0, v4
	v_add_u32_e32 v8, v10, v8
	v_add_u32_e32 v8, v8, v11
	v_mul_lo_u32 v13, v4, v8
	v_mul_hi_u32 v14, v4, v12
	v_mul_hi_u32 v15, v4, v8
	;; [unrolled: 1-line block ×3, first 2 shown]
	v_mul_lo_u32 v12, v7, v12
	v_mul_hi_u32 v10, v7, v8
	v_add_co_u32_e32 v13, vcc, v14, v13
	v_addc_co_u32_e32 v14, vcc, 0, v15, vcc
	v_mul_lo_u32 v8, v7, v8
	v_add_co_u32_e32 v12, vcc, v13, v12
	v_addc_co_u32_e32 v11, vcc, v14, v11, vcc
	v_addc_co_u32_e32 v10, vcc, 0, v10, vcc
	v_add_co_u32_e32 v8, vcc, v11, v8
	v_addc_co_u32_e32 v10, vcc, 0, v10, vcc
	v_add_co_u32_e32 v4, vcc, v4, v8
	v_addc_co_u32_e32 v10, vcc, v7, v10, vcc
	v_mad_u64_u32 v[7:8], s[0:1], v5, v10, 0
	v_mul_hi_u32 v11, v5, v4
	v_add_co_u32_e32 v12, vcc, v11, v7
	v_addc_co_u32_e32 v13, vcc, 0, v8, vcc
	v_mad_u64_u32 v[7:8], s[0:1], v6, v4, 0
	v_mad_u64_u32 v[10:11], s[0:1], v6, v10, 0
	v_add_co_u32_e32 v4, vcc, v12, v7
	v_addc_co_u32_e32 v4, vcc, v13, v8, vcc
	v_addc_co_u32_e32 v7, vcc, 0, v11, vcc
	v_add_co_u32_e32 v4, vcc, v4, v10
	v_addc_co_u32_e32 v10, vcc, 0, v7, vcc
	v_mul_lo_u32 v11, s19, v4
	v_mul_lo_u32 v12, s18, v10
	v_mad_u64_u32 v[7:8], s[0:1], s18, v4, 0
	v_add3_u32 v8, v8, v12, v11
	v_sub_u32_e32 v11, v6, v8
	v_mov_b32_e32 v12, s19
	v_sub_co_u32_e32 v7, vcc, v5, v7
	v_subb_co_u32_e64 v11, s[0:1], v11, v12, vcc
	v_subrev_co_u32_e64 v12, s[0:1], s18, v7
	v_subbrev_co_u32_e64 v11, s[0:1], 0, v11, s[0:1]
	v_cmp_le_u32_e64 s[0:1], s19, v11
	v_cndmask_b32_e64 v13, 0, -1, s[0:1]
	v_cmp_le_u32_e64 s[0:1], s18, v12
	v_cndmask_b32_e64 v12, 0, -1, s[0:1]
	v_cmp_eq_u32_e64 s[0:1], s19, v11
	v_cndmask_b32_e64 v11, v13, v12, s[0:1]
	v_add_co_u32_e64 v12, s[0:1], 2, v4
	v_addc_co_u32_e64 v13, s[0:1], 0, v10, s[0:1]
	v_add_co_u32_e64 v14, s[0:1], 1, v4
	v_addc_co_u32_e64 v15, s[0:1], 0, v10, s[0:1]
	v_subb_co_u32_e32 v8, vcc, v6, v8, vcc
	v_cmp_ne_u32_e64 s[0:1], 0, v11
	v_cmp_le_u32_e32 vcc, s19, v8
	v_cndmask_b32_e64 v11, v15, v13, s[0:1]
	v_cndmask_b32_e64 v13, 0, -1, vcc
	v_cmp_le_u32_e32 vcc, s18, v7
	v_cndmask_b32_e64 v7, 0, -1, vcc
	v_cmp_eq_u32_e32 vcc, s19, v8
	v_cndmask_b32_e32 v7, v13, v7, vcc
	v_cmp_ne_u32_e32 vcc, 0, v7
	v_cndmask_b32_e64 v7, v14, v12, s[0:1]
	v_cndmask_b32_e32 v8, v10, v11, vcc
	v_cndmask_b32_e32 v7, v4, v7, vcc
.LBB0_4:                                ;   in Loop: Header=BB0_2 Depth=1
	s_andn2_saveexec_b64 s[0:1], s[20:21]
	s_cbranch_execz .LBB0_6
; %bb.5:                                ;   in Loop: Header=BB0_2 Depth=1
	v_cvt_f32_u32_e32 v4, s18
	s_sub_i32 s20, 0, s18
	v_rcp_iflag_f32_e32 v4, v4
	v_mul_f32_e32 v4, 0x4f7ffffe, v4
	v_cvt_u32_f32_e32 v4, v4
	v_mul_lo_u32 v7, s20, v4
	v_mul_hi_u32 v7, v4, v7
	v_add_u32_e32 v4, v4, v7
	v_mul_hi_u32 v4, v5, v4
	v_mul_lo_u32 v7, v4, s18
	v_add_u32_e32 v8, 1, v4
	v_sub_u32_e32 v7, v5, v7
	v_subrev_u32_e32 v10, s18, v7
	v_cmp_le_u32_e32 vcc, s18, v7
	v_cndmask_b32_e32 v7, v7, v10, vcc
	v_cndmask_b32_e32 v4, v4, v8, vcc
	v_add_u32_e32 v8, 1, v4
	v_cmp_le_u32_e32 vcc, s18, v7
	v_cndmask_b32_e32 v7, v4, v8, vcc
	v_mov_b32_e32 v8, v3
.LBB0_6:                                ;   in Loop: Header=BB0_2 Depth=1
	s_or_b64 exec, exec, s[0:1]
	v_mul_lo_u32 v4, v8, s18
	v_mul_lo_u32 v12, v7, s19
	v_mad_u64_u32 v[10:11], s[0:1], v7, s18, 0
	s_load_dwordx2 s[0:1], s[6:7], 0x0
	s_add_u32 s16, s16, 1
	v_add3_u32 v4, v11, v12, v4
	v_sub_co_u32_e32 v5, vcc, v5, v10
	v_subb_co_u32_e32 v4, vcc, v6, v4, vcc
	s_waitcnt lgkmcnt(0)
	v_mul_lo_u32 v4, s0, v4
	v_mul_lo_u32 v6, s1, v5
	v_mad_u64_u32 v[1:2], s[0:1], s0, v5, v[1:2]
	s_addc_u32 s17, s17, 0
	s_add_u32 s6, s6, 8
	v_add3_u32 v2, v6, v2, v4
	v_mov_b32_e32 v4, s10
	v_mov_b32_e32 v5, s11
	s_addc_u32 s7, s7, 0
	v_cmp_ge_u64_e32 vcc, s[16:17], v[4:5]
	s_add_u32 s14, s14, 8
	s_addc_u32 s15, s15, 0
	s_cbranch_vccnz .LBB0_9
; %bb.7:                                ;   in Loop: Header=BB0_2 Depth=1
	v_mov_b32_e32 v5, v7
	v_mov_b32_e32 v6, v8
	s_branch .LBB0_2
.LBB0_8:
	v_mov_b32_e32 v8, v6
	v_mov_b32_e32 v7, v5
.LBB0_9:
	s_lshl_b64 s[0:1], s[10:11], 3
	s_add_u32 s0, s2, s0
	s_addc_u32 s1, s3, s1
	s_load_dwordx2 s[2:3], s[0:1], 0x0
	s_load_dwordx2 s[6:7], s[4:5], 0x20
	v_and_b32_e32 v5, 1, v9
	v_mov_b32_e32 v6, 0x439
	v_cmp_eq_u32_e32 vcc, 1, v5
	s_waitcnt lgkmcnt(0)
	v_mul_lo_u32 v3, s2, v8
	v_mul_lo_u32 v4, s3, v7
	v_mad_u64_u32 v[1:2], s[0:1], s2, v7, v[1:2]
	s_mov_b32 s0, 0x25ed098
	v_cndmask_b32_e32 v21, 0, v6, vcc
	v_add3_u32 v2, v4, v2, v3
	v_mul_hi_u32 v3, v0, s0
	v_cmp_gt_u64_e64 s[0:1], s[6:7], v[7:8]
	v_lshlrev_b32_e32 v17, 2, v21
	v_mul_u32_u24_e32 v3, 0x6c, v3
	v_sub_u32_e32 v0, v0, v3
	v_lshlrev_b64 v[2:3], 2, v[1:2]
	s_and_saveexec_b64 s[2:3], s[0:1]
	s_cbranch_execz .LBB0_13
; %bb.10:
	v_mov_b32_e32 v1, 0
	v_mov_b32_e32 v4, s13
	v_add_co_u32_e32 v5, vcc, s12, v2
	v_lshlrev_b64 v[6:7], 2, v[0:1]
	v_addc_co_u32_e32 v4, vcc, v4, v3, vcc
	v_add_co_u32_e32 v6, vcc, v5, v6
	v_addc_co_u32_e32 v7, vcc, v4, v7, vcc
	global_load_dword v8, v[6:7], off
	global_load_dword v9, v[6:7], off offset:432
	global_load_dword v10, v[6:7], off offset:864
	;; [unrolled: 1-line block ×9, first 2 shown]
	v_lshlrev_b32_e32 v1, 2, v0
	s_movk_i32 s4, 0x6b
	v_add3_u32 v1, 0, v17, v1
	v_cmp_eq_u32_e32 vcc, s4, v0
	v_add_u32_e32 v6, 0x200, v1
	v_add_u32_e32 v7, 0x600, v1
	;; [unrolled: 1-line block ×4, first 2 shown]
	s_waitcnt vmcnt(8)
	ds_write2_b32 v1, v8, v9 offset1:108
	s_waitcnt vmcnt(6)
	ds_write2_b32 v6, v10, v11 offset0:88 offset1:196
	s_waitcnt vmcnt(4)
	ds_write2_b32 v7, v12, v13 offset0:48 offset1:156
	;; [unrolled: 2-line block ×4, first 2 shown]
	s_and_saveexec_b64 s[4:5], vcc
	s_cbranch_execz .LBB0_12
; %bb.11:
	v_add_co_u32_e32 v5, vcc, 0x1000, v5
	v_addc_co_u32_e32 v6, vcc, 0, v4, vcc
	global_load_dword v0, v[5:6], off offset:224
	s_waitcnt vmcnt(0)
	ds_write_b32 v1, v0 offset:3892
	v_mov_b32_e32 v0, 0x6b
.LBB0_12:
	s_or_b64 exec, exec, s[4:5]
.LBB0_13:
	s_or_b64 exec, exec, s[2:3]
	v_lshl_add_u32 v16, v21, 2, 0
	v_lshlrev_b32_e32 v1, 2, v0
	v_add_u32_e32 v18, v16, v1
	s_waitcnt lgkmcnt(0)
	s_barrier
	v_sub_u32_e32 v6, v16, v1
	ds_read_u16 v1, v18
	ds_read_u16 v4, v6 offset:4320
	s_add_u32 s4, s8, 0x10c8
	s_addc_u32 s5, s9, 0
	v_cmp_ne_u32_e32 vcc, 0, v0
	s_waitcnt lgkmcnt(0)
	v_add_f16_e32 v8, v4, v1
	v_sub_f16_e32 v7, v1, v4
                                        ; implicit-def: $vgpr4_vgpr5
	s_and_saveexec_b64 s[2:3], vcc
	s_xor_b64 s[2:3], exec, s[2:3]
	s_cbranch_execz .LBB0_15
; %bb.14:
	v_mov_b32_e32 v1, 0
	v_lshlrev_b64 v[4:5], 2, v[0:1]
	v_mov_b32_e32 v9, s5
	v_add_co_u32_e32 v4, vcc, s4, v4
	v_addc_co_u32_e32 v5, vcc, v9, v5, vcc
	global_load_dword v4, v[4:5], off
	ds_read_u16 v5, v6 offset:4322
	ds_read_u16 v9, v18 offset:2
	s_waitcnt lgkmcnt(0)
	v_add_f16_e32 v10, v5, v9
	v_sub_f16_e32 v5, v9, v5
	s_waitcnt vmcnt(0)
	v_lshrrev_b32_e32 v9, 16, v4
	v_fma_f16 v11, v7, v9, v8
	v_fma_f16 v12, v10, v9, v5
	v_fma_f16 v8, -v7, v9, v8
	v_fma_f16 v5, v10, v9, -v5
	v_fma_f16 v9, -v4, v10, v11
	v_fma_f16 v11, v7, v4, v12
	v_fma_f16 v8, v4, v10, v8
	;; [unrolled: 1-line block ×3, first 2 shown]
	v_pack_b32_f16 v5, v9, v11
	v_pack_b32_f16 v4, v8, v4
	ds_write_b32 v18, v5
	ds_write_b32 v6, v4 offset:4320
	v_mov_b32_e32 v5, v1
	v_mov_b32_e32 v4, v0
                                        ; implicit-def: $vgpr8
                                        ; implicit-def: $vgpr7
.LBB0_15:
	s_andn2_saveexec_b64 s[2:3], s[2:3]
	s_cbranch_execz .LBB0_17
; %bb.16:
	v_pack_b32_f16 v1, v8, v7
	ds_write_b32 v18, v1
	ds_read_b32 v1, v16 offset:2160
	s_mov_b32 s6, 0xc0004000
	v_mov_b32_e32 v4, 0
	v_mov_b32_e32 v5, 0
	s_waitcnt lgkmcnt(0)
	v_pk_mul_f16 v1, v1, s6
	ds_write_b32 v16, v1 offset:2160
.LBB0_17:
	s_or_b64 exec, exec, s[2:3]
	v_lshlrev_b64 v[4:5], 2, v[4:5]
	v_mov_b32_e32 v1, s5
	v_add_co_u32_e32 v4, vcc, s4, v4
	v_addc_co_u32_e32 v5, vcc, v1, v5, vcc
	global_load_dword v1, v[4:5], off offset:432
	global_load_dword v7, v[4:5], off offset:864
	;; [unrolled: 1-line block ×4, first 2 shown]
	ds_read_b32 v4, v18 offset:432
	ds_read_b32 v5, v6 offset:3888
	s_movk_i32 s2, 0x3aee
	s_mov_b32 s3, 0xb8003800
	s_mov_b32 s4, 0xffff
	s_waitcnt lgkmcnt(0)
	v_add_f16_e32 v10, v4, v5
	v_add_f16_sdwa v11, v5, v4 dst_sel:DWORD dst_unused:UNUSED_PAD src0_sel:WORD_1 src1_sel:WORD_1
	v_sub_f16_e32 v12, v4, v5
	v_sub_f16_sdwa v4, v4, v5 dst_sel:DWORD dst_unused:UNUSED_PAD src0_sel:WORD_1 src1_sel:WORD_1
	s_waitcnt vmcnt(3)
	v_lshrrev_b32_e32 v5, 16, v1
	v_fma_f16 v13, v12, v5, v10
	v_fma_f16 v14, v11, v5, v4
	v_fma_f16 v10, -v12, v5, v10
	v_fma_f16 v4, v11, v5, -v4
	v_fma_f16 v5, -v1, v11, v13
	v_fma_f16 v13, v12, v1, v14
	v_fma_f16 v10, v1, v11, v10
	;; [unrolled: 1-line block ×3, first 2 shown]
	v_pack_b32_f16 v4, v5, v13
	v_pack_b32_f16 v1, v10, v1
	ds_write_b32 v18, v4 offset:432
	ds_write_b32 v6, v1 offset:3888
	ds_read_b32 v1, v18 offset:864
	ds_read_b32 v4, v6 offset:3456
	s_waitcnt vmcnt(2)
	v_lshrrev_b32_e32 v10, 16, v7
	v_lshl_add_u32 v5, v0, 2, 0
	s_waitcnt lgkmcnt(0)
	v_add_f16_e32 v11, v1, v4
	v_add_f16_sdwa v12, v4, v1 dst_sel:DWORD dst_unused:UNUSED_PAD src0_sel:WORD_1 src1_sel:WORD_1
	v_sub_f16_e32 v13, v1, v4
	v_sub_f16_sdwa v1, v1, v4 dst_sel:DWORD dst_unused:UNUSED_PAD src0_sel:WORD_1 src1_sel:WORD_1
	v_fma_f16 v4, v13, v10, v11
	v_fma_f16 v14, v12, v10, v1
	v_fma_f16 v11, -v13, v10, v11
	v_fma_f16 v1, v12, v10, -v1
	v_fma_f16 v4, -v7, v12, v4
	v_fma_f16 v10, v13, v7, v14
	v_fma_f16 v11, v7, v12, v11
	;; [unrolled: 1-line block ×3, first 2 shown]
	v_pack_b32_f16 v4, v4, v10
	v_pack_b32_f16 v1, v11, v1
	ds_write_b32 v18, v4 offset:864
	ds_write_b32 v6, v1 offset:3456
	ds_read_b32 v4, v18 offset:1296
	ds_read_b32 v7, v6 offset:3024
	s_waitcnt vmcnt(1)
	v_lshrrev_b32_e32 v10, 16, v8
	v_add_u32_e32 v1, v5, v17
	v_add_u32_e32 v23, 0x400, v1
	;; [unrolled: 1-line block ×3, first 2 shown]
	s_waitcnt lgkmcnt(0)
	v_add_f16_e32 v11, v4, v7
	v_add_f16_sdwa v12, v7, v4 dst_sel:DWORD dst_unused:UNUSED_PAD src0_sel:WORD_1 src1_sel:WORD_1
	v_sub_f16_e32 v13, v4, v7
	v_sub_f16_sdwa v4, v4, v7 dst_sel:DWORD dst_unused:UNUSED_PAD src0_sel:WORD_1 src1_sel:WORD_1
	v_fma_f16 v7, v13, v10, v11
	v_fma_f16 v14, v12, v10, v4
	v_fma_f16 v11, -v13, v10, v11
	v_fma_f16 v4, v12, v10, -v4
	v_fma_f16 v7, -v8, v12, v7
	v_fma_f16 v10, v13, v8, v14
	v_fma_f16 v11, v8, v12, v11
	;; [unrolled: 1-line block ×3, first 2 shown]
	v_pack_b32_f16 v7, v7, v10
	v_pack_b32_f16 v4, v11, v4
	ds_write_b32 v18, v7 offset:1296
	ds_write_b32 v6, v4 offset:3024
	ds_read_b32 v4, v18 offset:1728
	ds_read_b32 v7, v6 offset:2592
	s_waitcnt vmcnt(0)
	v_lshrrev_b32_e32 v8, 16, v9
	v_add_u32_e32 v12, 0x600, v1
	v_add_u32_e32 v14, 0xc00, v1
	s_waitcnt lgkmcnt(0)
	v_add_f16_e32 v10, v4, v7
	v_add_f16_sdwa v11, v7, v4 dst_sel:DWORD dst_unused:UNUSED_PAD src0_sel:WORD_1 src1_sel:WORD_1
	v_sub_f16_e32 v13, v4, v7
	v_sub_f16_sdwa v4, v4, v7 dst_sel:DWORD dst_unused:UNUSED_PAD src0_sel:WORD_1 src1_sel:WORD_1
	v_fma_f16 v7, v13, v8, v10
	v_fma_f16 v15, v11, v8, v4
	v_fma_f16 v10, -v13, v8, v10
	v_fma_f16 v4, v11, v8, -v4
	v_fma_f16 v7, -v9, v11, v7
	v_fma_f16 v8, v13, v9, v15
	v_fma_f16 v10, v9, v11, v10
	;; [unrolled: 1-line block ×3, first 2 shown]
	v_pack_b32_f16 v7, v7, v8
	v_pack_b32_f16 v4, v10, v4
	ds_write_b32 v18, v7 offset:1728
	ds_write_b32 v6, v4 offset:2592
	s_waitcnt lgkmcnt(0)
	s_barrier
	s_barrier
	ds_read2_b32 v[8:9], v23 offset0:32 offset1:104
	ds_read2_b32 v[10:11], v22 offset0:136 offset1:208
	;; [unrolled: 1-line block ×5, first 2 shown]
	ds_read_b32 v4, v18
	ds_read_b32 v24, v1 offset:4032
	s_waitcnt lgkmcnt(5)
	v_pk_add_f16 v19, v9, v11
	s_waitcnt lgkmcnt(3)
	v_pk_add_f16 v25, v13, v7
	v_pk_add_f16 v20, v9, v11 neg_lo:[0,1] neg_hi:[0,1]
	v_pk_add_f16 v26, v13, v7 neg_lo:[0,1] neg_hi:[0,1]
	s_waitcnt lgkmcnt(1)
	v_pk_fma_f16 v19, v19, 0.5, v4 op_sel_hi:[1,0,1] neg_lo:[1,0,0] neg_hi:[1,0,0]
	v_pk_fma_f16 v25, v25, 0.5, v15 op_sel_hi:[1,0,1] neg_lo:[1,0,0] neg_hi:[1,0,0]
	v_pk_fma_f16 v27, v20, s2, v19 op_sel:[0,0,1] op_sel_hi:[1,0,0] neg_lo:[1,0,0] neg_hi:[1,0,0]
	v_pk_fma_f16 v20, v20, s2, v19 op_sel:[0,0,1] op_sel_hi:[1,0,0]
	v_pk_fma_f16 v19, v26, s2, v25 op_sel:[0,0,1] op_sel_hi:[1,0,0]
	v_pk_fma_f16 v25, v26, s2, v25 op_sel:[0,0,1] op_sel_hi:[1,0,0] neg_lo:[1,0,0] neg_hi:[1,0,0]
	v_lshrrev_b32_e32 v26, 16, v25
	v_mul_f16_e32 v28, 0x3aee, v19
	v_pk_mul_f16 v29, v25, s2 op_sel_hi:[1,0]
	v_lshrrev_b32_e32 v30, 16, v19
	v_mul_f16_e32 v25, -0.5, v25
	v_fma_f16 v26, v26, 0.5, -v28
	v_pk_fma_f16 v28, v19, s3, v29 op_sel:[0,0,1] op_sel_hi:[1,1,0]
	v_pk_fma_f16 v29, v19, s3, v29 op_sel:[0,0,1] op_sel_hi:[1,1,0] neg_lo:[0,0,1] neg_hi:[0,0,1]
	v_fma_f16 v25, v30, s2, v25
	v_bfi_b32 v19, s4, v28, v29
	v_pk_add_f16 v19, v20, v19
	v_add_f16_e32 v30, v27, v25
	v_add_f16_sdwa v31, v27, v26 dst_sel:DWORD dst_unused:UNUSED_PAD src0_sel:WORD_1 src1_sel:DWORD
	v_pk_add_f16 v4, v4, v9
	v_pk_add_f16 v9, v15, v13
	v_alignbit_b32 v30, v30, v19, 16
	v_pack_b32_f16 v31, v31, v19
	v_mad_u32_u24 v19, v0, 20, v5
	v_pack_b32_f16 v26, v26, v28
	v_alignbit_b32 v28, v20, v27, 16
	v_pk_add_f16 v4, v4, v11
	v_pk_add_f16 v7, v9, v7
	v_add_u32_e32 v5, v19, v17
	v_pk_add_f16 v26, v28, v26 neg_lo:[0,1] neg_hi:[0,1]
	v_pk_add_f16 v9, v4, v7 neg_lo:[0,1] neg_hi:[0,1]
	s_waitcnt lgkmcnt(0)
	s_barrier
	ds_write2_b32 v5, v9, v26 offset0:3 offset1:4
	v_pk_add_f16 v4, v4, v7
	v_alignbit_b32 v7, v27, v20, 16
	v_alignbit_b32 v9, v25, v29, 16
	v_pk_add_f16 v7, v7, v9 neg_lo:[0,1] neg_hi:[0,1]
	ds_write2_b32 v5, v4, v7 offset1:5
	v_pk_add_f16 v4, v12, v6
	ds_write2_b32 v5, v31, v30 offset0:1 offset1:2
	v_pk_fma_f16 v4, v4, 0.5, v14 op_sel_hi:[1,0,1] neg_lo:[1,0,0] neg_hi:[1,0,0]
	v_pk_add_f16 v5, v12, v6 neg_lo:[0,1] neg_hi:[0,1]
	v_pk_fma_f16 v7, v5, s2, v4 op_sel:[0,0,1] op_sel_hi:[1,0,0] neg_lo:[1,0,0] neg_hi:[1,0,0]
	v_pk_fma_f16 v9, v5, s2, v4 op_sel:[0,0,1] op_sel_hi:[1,0,0]
	v_pk_add_f16 v4, v10, v24
	v_pk_fma_f16 v4, v4, 0.5, v8 op_sel_hi:[1,0,1] neg_lo:[1,0,0] neg_hi:[1,0,0]
	v_pk_add_f16 v5, v10, v24 neg_lo:[0,1] neg_hi:[0,1]
	v_pk_fma_f16 v15, v5, s2, v4 op_sel:[0,0,1] op_sel_hi:[1,0,0]
	v_pk_fma_f16 v4, v5, s2, v4 op_sel:[0,0,1] op_sel_hi:[1,0,0] neg_lo:[1,0,0] neg_hi:[1,0,0]
	v_lshrrev_b32_e32 v5, 16, v4
	v_mul_f16_e32 v11, 0x3aee, v15
	v_fma_f16 v11, v5, 0.5, -v11
	v_pk_mul_f16 v5, v4, s2 op_sel_hi:[1,0]
	v_pk_fma_f16 v13, v15, s3, v5 op_sel:[0,0,1] op_sel_hi:[1,1,0]
	v_pk_fma_f16 v5, v15, s3, v5 op_sel:[0,0,1] op_sel_hi:[1,1,0] neg_lo:[0,0,1] neg_hi:[0,0,1]
	v_bfi_b32 v13, s4, v13, v5
	v_lshrrev_b32_e32 v5, 16, v15
	v_mul_f16_e32 v4, -0.5, v4
	v_fma_f16 v25, v5, s2, v4
	v_pk_add_f16 v20, v9, v13 neg_lo:[0,1] neg_hi:[0,1]
	s_movk_i32 s2, 0x48
	v_sub_f16_sdwa v4, v7, v11 dst_sel:DWORD dst_unused:UNUSED_PAD src0_sel:WORD_1 src1_sel:DWORD
	v_lshrrev_b32_e32 v5, 16, v20
	v_cmp_gt_u32_e32 vcc, s2, v0
	v_sub_f16_e32 v15, v7, v25
	s_and_saveexec_b64 s[2:3], vcc
	s_cbranch_execz .LBB0_19
; %bb.18:
	v_pk_add_f16 v12, v14, v12
	v_pk_add_f16 v8, v8, v10
	v_add_f16_e32 v10, v7, v25
	v_pk_add_f16 v9, v9, v13
	v_add_f16_sdwa v7, v7, v11 dst_sel:DWORD dst_unused:UNUSED_PAD src0_sel:WORD_1 src1_sel:DWORD
	v_lshl_add_u32 v11, v21, 2, v19
	v_pk_add_f16 v6, v12, v6
	v_pk_add_f16 v8, v8, v24
	v_add_u32_e32 v13, 0xa24, v11
	v_alignbit_b32 v10, v10, v9, 16
	v_pack_b32_f16 v7, v7, v9
	s_mov_b32 s4, 0x5040100
	v_pk_add_f16 v12, v6, v8
	ds_write2_b32 v13, v7, v10 offset1:1
	v_add_u32_e32 v7, 0xa2c, v11
	v_pk_add_f16 v6, v6, v8 neg_lo:[0,1] neg_hi:[0,1]
	v_perm_b32 v8, v20, v4, s4
	ds_write2_b32 v7, v6, v8 offset1:1
	v_perm_b32 v6, v15, v5, s4
	v_add_u32_e32 v7, 0x800, v11
	ds_write2_b32 v7, v12, v6 offset0:136 offset1:141
.LBB0_19:
	s_or_b64 exec, exec, s[2:3]
	s_movk_i32 s2, 0xab
	v_mul_lo_u16_sdwa v6, v0, s2 dst_sel:DWORD dst_unused:UNUSED_PAD src0_sel:BYTE_0 src1_sel:DWORD
	v_lshrrev_b16_e32 v14, 10, v6
	v_mul_lo_u16_e32 v6, 6, v14
	v_sub_u16_e32 v32, v0, v6
	v_mov_b32_e32 v6, 9
	v_mul_u32_u24_sdwa v6, v32, v6 dst_sel:DWORD dst_unused:UNUSED_PAD src0_sel:BYTE_0 src1_sel:DWORD
	v_lshlrev_b32_e32 v21, 2, v6
	s_waitcnt lgkmcnt(0)
	s_barrier
	global_load_dwordx4 v[6:9], v21, s[8:9]
	global_load_dwordx4 v[10:13], v21, s[8:9] offset:16
	global_load_dword v33, v21, s[8:9] offset:32
	v_add_u32_e32 v21, 0xa00, v1
	ds_read2_b32 v[24:25], v1 offset0:108 offset1:216
	ds_read2_b32 v[26:27], v23 offset0:68 offset1:176
	;; [unrolled: 1-line block ×3, first 2 shown]
	ds_read_b32 v23, v1 offset:3888
	ds_read_b32 v34, v18
	ds_read2_b32 v[30:31], v21 offset0:116 offset1:224
	s_waitcnt lgkmcnt(5)
	v_lshrrev_b32_e32 v21, 16, v24
	v_lshrrev_b32_e32 v35, 16, v25
	s_waitcnt lgkmcnt(4)
	v_lshrrev_b32_e32 v36, 16, v26
	v_lshrrev_b32_e32 v37, 16, v27
	s_waitcnt lgkmcnt(3)
	v_lshrrev_b32_e32 v38, 16, v29
	s_waitcnt lgkmcnt(0)
	v_lshrrev_b32_e32 v41, 16, v30
	v_lshrrev_b32_e32 v42, 16, v31
	;; [unrolled: 1-line block ×4, first 2 shown]
	s_mov_b32 s5, 0xbb9c
	s_movk_i32 s3, 0x3b9c
	s_mov_b32 s4, 0xb8b4
	s_movk_i32 s2, 0x38b4
	s_movk_i32 s6, 0x34f2
	s_waitcnt vmcnt(0)
	s_barrier
	v_mul_f16_sdwa v43, v6, v21 dst_sel:DWORD dst_unused:UNUSED_PAD src0_sel:WORD_1 src1_sel:DWORD
	v_mul_f16_sdwa v44, v6, v24 dst_sel:DWORD dst_unused:UNUSED_PAD src0_sel:WORD_1 src1_sel:DWORD
	v_mul_f16_sdwa v45, v7, v35 dst_sel:DWORD dst_unused:UNUSED_PAD src0_sel:WORD_1 src1_sel:DWORD
	v_mul_f16_sdwa v46, v7, v25 dst_sel:DWORD dst_unused:UNUSED_PAD src0_sel:WORD_1 src1_sel:DWORD
	v_mul_f16_sdwa v47, v8, v36 dst_sel:DWORD dst_unused:UNUSED_PAD src0_sel:WORD_1 src1_sel:DWORD
	v_mul_f16_sdwa v48, v8, v26 dst_sel:DWORD dst_unused:UNUSED_PAD src0_sel:WORD_1 src1_sel:DWORD
	v_mul_f16_sdwa v49, v9, v37 dst_sel:DWORD dst_unused:UNUSED_PAD src0_sel:WORD_1 src1_sel:DWORD
	v_mul_f16_sdwa v50, v9, v27 dst_sel:DWORD dst_unused:UNUSED_PAD src0_sel:WORD_1 src1_sel:DWORD
	v_fma_f16 v24, v6, v24, v43
	v_fma_f16 v25, v7, v25, v45
	;; [unrolled: 1-line block ×3, first 2 shown]
	v_mul_f16_sdwa v47, v38, v11 dst_sel:DWORD dst_unused:UNUSED_PAD src0_sel:DWORD src1_sel:WORD_1
	v_fma_f16 v6, v6, v21, -v44
	v_mul_f16_sdwa v21, v41, v12 dst_sel:DWORD dst_unused:UNUSED_PAD src0_sel:DWORD src1_sel:WORD_1
	v_fma_f16 v7, v7, v35, -v46
	v_mul_f16_sdwa v35, v42, v13 dst_sel:DWORD dst_unused:UNUSED_PAD src0_sel:DWORD src1_sel:WORD_1
	v_mul_f16_sdwa v43, v10, v39 dst_sel:DWORD dst_unused:UNUSED_PAD src0_sel:WORD_1 src1_sel:DWORD
	v_mul_f16_sdwa v45, v10, v28 dst_sel:DWORD dst_unused:UNUSED_PAD src0_sel:WORD_1 src1_sel:DWORD
	v_fma_f16 v27, v9, v27, v49
	v_mul_f16_sdwa v49, v29, v11 dst_sel:DWORD dst_unused:UNUSED_PAD src0_sel:DWORD src1_sel:WORD_1
	v_fma_f16 v8, v8, v36, -v48
	v_mul_f16_sdwa v36, v30, v12 dst_sel:DWORD dst_unused:UNUSED_PAD src0_sel:DWORD src1_sel:WORD_1
	v_fma_f16 v9, v9, v37, -v50
	v_mul_f16_sdwa v37, v31, v13 dst_sel:DWORD dst_unused:UNUSED_PAD src0_sel:DWORD src1_sel:WORD_1
	v_mul_f16_sdwa v44, v40, v33 dst_sel:DWORD dst_unused:UNUSED_PAD src0_sel:DWORD src1_sel:WORD_1
	;; [unrolled: 1-line block ×3, first 2 shown]
	v_fma_f16 v29, v29, v11, v47
	v_fma_f16 v21, v30, v12, v21
	;; [unrolled: 1-line block ×4, first 2 shown]
	v_fma_f16 v10, v10, v39, -v45
	v_fma_f16 v11, v38, v11, -v49
	;; [unrolled: 1-line block ×4, first 2 shown]
	v_fma_f16 v23, v23, v33, v44
	v_fma_f16 v31, v40, v33, -v46
	v_sub_f16_e32 v33, v25, v27
	v_sub_f16_e32 v35, v30, v29
	;; [unrolled: 1-line block ×4, first 2 shown]
	v_add_f16_e32 v38, v27, v29
	v_add_f16_e32 v39, v25, v30
	v_sub_f16_e32 v40, v7, v13
	v_sub_f16_e32 v41, v9, v11
	v_add_f16_e32 v33, v33, v35
	v_add_f16_e32 v35, v36, v37
	v_fma_f16 v36, v38, -0.5, v34
	v_fma_f16 v37, v39, -0.5, v34
	v_fma_f16 v38, v40, s5, v36
	v_fma_f16 v36, v40, s3, v36
	;; [unrolled: 1-line block ×12, first 2 shown]
	v_add_f16_e32 v37, v34, v25
	v_add_f16_e32 v37, v37, v27
	;; [unrolled: 1-line block ×4, first 2 shown]
	v_sub_f16_e32 v25, v25, v30
	v_sub_f16_e32 v27, v27, v29
	;; [unrolled: 1-line block ×4, first 2 shown]
	v_add_f16_e32 v29, v29, v30
	v_lshrrev_b32_e32 v30, 16, v34
	v_add_f16_e32 v34, v9, v11
	v_fma_f16 v34, v34, -0.5, v30
	v_fma_f16 v39, v25, s3, v34
	v_fma_f16 v34, v25, s5, v34
	;; [unrolled: 1-line block ×6, first 2 shown]
	v_add_f16_e32 v34, v7, v13
	v_fma_f16 v34, v34, -0.5, v30
	v_add_f16_e32 v30, v30, v7
	v_add_f16_e32 v30, v30, v9
	v_sub_f16_e32 v7, v9, v7
	v_add_f16_e32 v9, v30, v11
	v_add_f16_e32 v30, v9, v13
	v_sub_f16_e32 v9, v11, v13
	v_add_f16_e32 v7, v7, v9
	v_fma_f16 v9, v27, s5, v34
	v_fma_f16 v11, v27, s3, v34
	;; [unrolled: 1-line block ×6, first 2 shown]
	v_sub_f16_e32 v7, v26, v28
	v_sub_f16_e32 v9, v23, v21
	v_add_f16_e32 v7, v7, v9
	v_add_f16_e32 v9, v28, v21
	v_fma_f16 v9, v9, -0.5, v24
	v_sub_f16_e32 v25, v8, v31
	v_fma_f16 v27, v25, s5, v9
	v_sub_f16_e32 v34, v10, v12
	v_fma_f16 v9, v25, s3, v9
	v_fma_f16 v27, v34, s4, v27
	;; [unrolled: 1-line block ×5, first 2 shown]
	v_sub_f16_e32 v7, v28, v26
	v_sub_f16_e32 v9, v21, v23
	v_add_f16_e32 v7, v7, v9
	v_add_f16_e32 v9, v26, v23
	v_fma_f16 v9, v9, -0.5, v24
	v_fma_f16 v41, v34, s3, v9
	v_fma_f16 v9, v34, s5, v9
	;; [unrolled: 1-line block ×6, first 2 shown]
	v_add_f16_e32 v7, v24, v26
	v_add_f16_e32 v7, v7, v28
	;; [unrolled: 1-line block ×4, first 2 shown]
	v_sub_f16_e32 v7, v26, v23
	v_sub_f16_e32 v9, v28, v21
	;; [unrolled: 1-line block ×4, first 2 shown]
	v_add_f16_e32 v21, v21, v23
	v_add_f16_e32 v23, v10, v12
	v_fma_f16 v23, v23, -0.5, v6
	v_fma_f16 v26, v7, s3, v23
	v_fma_f16 v23, v7, s5, v23
	;; [unrolled: 1-line block ×6, first 2 shown]
	v_add_f16_e32 v23, v8, v31
	v_fma_f16 v23, v23, -0.5, v6
	v_add_f16_e32 v6, v6, v8
	v_add_f16_e32 v6, v6, v10
	;; [unrolled: 1-line block ×3, first 2 shown]
	v_sub_f16_e32 v8, v10, v8
	v_add_f16_e32 v10, v6, v31
	v_sub_f16_e32 v6, v12, v31
	v_add_f16_e32 v6, v8, v6
	v_fma_f16 v8, v9, s5, v23
	v_fma_f16 v9, v9, s3, v23
	;; [unrolled: 1-line block ×6, first 2 shown]
	v_mul_f16_e32 v7, 0xbb9c, v12
	s_movk_i32 s4, 0x3a79
	v_mul_f16_e32 v6, 0xb8b4, v26
	v_fma_f16 v8, v25, s6, v7
	v_fma_f16 v6, v27, s4, v6
	v_sub_f16_e32 v7, v36, v8
	v_add_f16_e32 v31, v36, v8
	s_mov_b32 s4, 0xb4f2
	v_mul_f16_e32 v8, 0xbb9c, v23
	v_fma_f16 v8, v34, s4, v8
	s_mov_b32 s4, 0xba79
	v_mul_f16_e32 v9, 0xb8b4, v21
	v_mul_f16_e32 v26, 0x3a79, v26
	;; [unrolled: 1-line block ×3, first 2 shown]
	v_fma_f16 v36, v40, s4, v9
	v_fma_f16 v26, v27, s2, v26
	;; [unrolled: 1-line block ×3, first 2 shown]
	v_mul_f16_e32 v23, 0xb4f2, v23
	v_mul_f16_e32 v21, 0xba79, v21
	v_add_f16_e32 v28, v38, v6
	v_sub_f16_e32 v6, v38, v6
	v_add_f16_e32 v38, v35, v8
	v_sub_f16_e32 v8, v35, v8
	v_sub_f16_e32 v9, v33, v36
	v_add_f16_e32 v33, v33, v36
	v_fma_f16 v23, v34, s3, v23
	v_fma_f16 v25, v40, s2, v21
	v_add_f16_e32 v35, v30, v10
	v_sub_f16_e32 v10, v30, v10
	v_add_f16_e32 v30, v39, v26
	v_sub_f16_e32 v21, v39, v26
	;; [unrolled: 2-line block ×3, first 2 shown]
	v_mov_b32_e32 v13, 2
	s_movk_i32 s2, 0xf0
	v_add_f16_e32 v34, v37, v24
	v_sub_f16_e32 v24, v37, v24
	v_add_f16_e32 v12, v11, v23
	v_sub_f16_e32 v27, v11, v23
	v_add_f16_e32 v11, v29, v25
	v_lshlrev_b32_sdwa v13, v13, v32 dst_sel:DWORD dst_unused:UNUSED_PAD src0_sel:DWORD src1_sel:BYTE_0
	v_mad_u32_u24 v14, v14, s2, 0
	v_add3_u32 v13, v14, v13, v17
	v_pack_b32_f16 v11, v33, v11
	v_pack_b32_f16 v10, v24, v10
	v_sub_f16_e32 v25, v29, v25
	ds_write2_b32 v13, v11, v10 offset0:24 offset1:30
	v_pack_b32_f16 v10, v6, v21
	v_pack_b32_f16 v11, v7, v26
	;; [unrolled: 1-line block ×4, first 2 shown]
	ds_write2_b32 v13, v10, v11 offset0:36 offset1:42
	v_pack_b32_f16 v10, v8, v27
	v_pack_b32_f16 v11, v9, v25
	ds_write2_b32 v13, v14, v23 offset1:6
	v_pack_b32_f16 v14, v31, v36
	v_pack_b32_f16 v12, v38, v12
	ds_write2_b32 v13, v10, v11 offset0:48 offset1:54
	v_add_u32_e32 v10, 0x200, v1
	ds_write2_b32 v13, v14, v12 offset0:12 offset1:18
	s_waitcnt lgkmcnt(0)
	s_barrier
	ds_read2_b32 v[10:11], v10 offset0:52 offset1:232
	ds_read2_b32 v[12:13], v22 offset0:28 offset1:208
	ds_read_b32 v24, v18
	ds_read_b32 v28, v1 offset:3600
	s_and_saveexec_b64 s[2:3], vcc
	s_cbranch_execz .LBB0_21
; %bb.20:
	v_add_u32_e32 v4, 0x100, v1
	ds_read2_b32 v[6:7], v4 offset0:44 offset1:224
	v_add_u32_e32 v4, 0x700, v1
	ds_read2_b32 v[8:9], v4 offset0:20 offset1:200
	;; [unrolled: 2-line block ×3, first 2 shown]
	s_waitcnt lgkmcnt(2)
	v_lshrrev_b32_e32 v21, 16, v6
	v_lshrrev_b32_e32 v26, 16, v7
	s_waitcnt lgkmcnt(1)
	v_lshrrev_b32_e32 v25, 16, v9
	v_lshrrev_b32_e32 v27, 16, v8
	;; [unrolled: 3-line block ×3, first 2 shown]
.LBB0_21:
	s_or_b64 exec, exec, s[2:3]
	v_subrev_u32_e32 v14, 60, v0
	v_cmp_gt_u32_e64 s[2:3], 60, v0
	v_cndmask_b32_e64 v37, v14, v0, s[2:3]
	v_mul_i32_i24_e32 v22, 5, v37
	v_mov_b32_e32 v23, 0
	v_lshlrev_b64 v[22:23], 2, v[22:23]
	v_mov_b32_e32 v14, s9
	v_add_co_u32_e64 v22, s[2:3], s8, v22
	v_addc_co_u32_e64 v23, s[2:3], v14, v23, s[2:3]
	v_add_u32_e32 v14, 0x6c, v0
	s_movk_i32 s2, 0x89
	global_load_dwordx4 v[29:32], v[22:23], off offset:216
	global_load_dword v38, v[22:23], off offset:232
	v_mul_lo_u16_sdwa v22, v14, s2 dst_sel:DWORD dst_unused:UNUSED_PAD src0_sel:BYTE_0 src1_sel:DWORD
	v_lshrrev_b16_e32 v22, 13, v22
	v_mul_lo_u16_e32 v23, 60, v22
	v_mov_b32_e32 v33, 5
	v_sub_u16_e32 v23, v14, v23
	v_mul_u32_u24_sdwa v33, v23, v33 dst_sel:DWORD dst_unused:UNUSED_PAD src0_sel:BYTE_0 src1_sel:DWORD
	v_lshlrev_b32_e32 v39, 2, v33
	global_load_dwordx4 v[33:36], v39, s[8:9] offset:216
	global_load_dword v40, v39, s[8:9] offset:232
	s_waitcnt lgkmcnt(3)
	v_lshrrev_b32_e32 v39, 16, v10
	v_lshrrev_b32_e32 v41, 16, v11
	s_waitcnt lgkmcnt(2)
	v_lshrrev_b32_e32 v42, 16, v12
	v_lshrrev_b32_e32 v43, 16, v13
	;; [unrolled: 3-line block ×3, first 2 shown]
	s_mov_b32 s3, 0xbaee
	s_movk_i32 s2, 0x3aee
	s_waitcnt vmcnt(0)
	s_barrier
	s_movk_i32 s4, 0x5a0
	v_mul_f16_sdwa v46, v29, v39 dst_sel:DWORD dst_unused:UNUSED_PAD src0_sel:WORD_1 src1_sel:DWORD
	v_mul_f16_sdwa v47, v29, v10 dst_sel:DWORD dst_unused:UNUSED_PAD src0_sel:WORD_1 src1_sel:DWORD
	;; [unrolled: 1-line block ×10, first 2 shown]
	v_fma_f16 v10, v29, v10, v46
	v_fma_f16 v11, v30, v11, v48
	;; [unrolled: 1-line block ×4, first 2 shown]
	v_fma_f16 v29, v29, v39, -v47
	v_fma_f16 v30, v30, v41, -v49
	;; [unrolled: 1-line block ×4, first 2 shown]
	v_fma_f16 v28, v38, v28, v54
	v_fma_f16 v38, v38, v45, -v55
	v_mul_f16_sdwa v42, v27, v34 dst_sel:DWORD dst_unused:UNUSED_PAD src0_sel:DWORD src1_sel:WORD_1
	v_mul_f16_sdwa v43, v8, v34 dst_sel:DWORD dst_unused:UNUSED_PAD src0_sel:DWORD src1_sel:WORD_1
	;; [unrolled: 1-line block ×8, first 2 shown]
	v_fma_f16 v27, v27, v34, -v43
	v_fma_f16 v8, v8, v34, v42
	v_fma_f16 v34, v9, v35, v45
	;; [unrolled: 1-line block ×3, first 2 shown]
	v_fma_f16 v20, v20, v36, -v48
	v_add_f16_e32 v4, v24, v11
	v_add_f16_e32 v36, v44, v30
	v_mul_f16_sdwa v39, v26, v33 dst_sel:DWORD dst_unused:UNUSED_PAD src0_sel:DWORD src1_sel:WORD_1
	v_mul_f16_sdwa v50, v5, v40 dst_sel:DWORD dst_unused:UNUSED_PAD src0_sel:DWORD src1_sel:WORD_1
	v_fma_f16 v26, v26, v33, -v41
	v_fma_f16 v25, v25, v35, -v46
	v_fma_f16 v35, v5, v40, v49
	v_add_f16_e32 v5, v11, v13
	v_sub_f16_e32 v11, v11, v13
	v_sub_f16_e32 v41, v31, v38
	v_add_f16_e32 v4, v4, v13
	v_add_f16_e32 v13, v36, v32
	v_add_f16_e32 v36, v29, v31
	v_add_f16_e32 v31, v31, v38
	v_fma_f16 v33, v7, v33, v39
	v_fma_f16 v15, v15, v40, -v50
	v_sub_f16_e32 v7, v30, v32
	v_add_f16_e32 v30, v30, v32
	v_add_f16_e32 v39, v10, v12
	;; [unrolled: 1-line block ×3, first 2 shown]
	v_fma_f16 v29, v31, -0.5, v29
	v_sub_f16_e32 v12, v12, v28
	v_fma_f16 v5, v5, -0.5, v24
	v_fma_f16 v24, v30, -0.5, v44
	v_add_f16_e32 v30, v39, v28
	v_fma_f16 v10, v40, -0.5, v10
	v_fma_f16 v28, v12, s2, v29
	v_fma_f16 v12, v12, s3, v29
	v_fma_f16 v32, v7, s3, v5
	v_fma_f16 v5, v7, s2, v5
	v_fma_f16 v7, v11, s2, v24
	v_fma_f16 v11, v11, s3, v24
	v_fma_f16 v24, v41, s3, v10
	v_fma_f16 v10, v41, s2, v10
	v_mul_f16_e32 v31, 0xbaee, v28
	v_mul_f16_e32 v39, 0xbaee, v12
	v_fma_f16 v31, v24, 0.5, v31
	v_fma_f16 v39, v10, -0.5, v39
	v_mul_f16_e32 v28, 0.5, v28
	v_mul_f16_e32 v12, -0.5, v12
	v_add_f16_e32 v36, v36, v38
	v_add_f16_e32 v38, v32, v31
	;; [unrolled: 1-line block ×3, first 2 shown]
	v_fma_f16 v24, v24, s2, v28
	v_fma_f16 v10, v10, s2, v12
	v_sub_f16_e32 v31, v32, v31
	v_sub_f16_e32 v32, v5, v39
	v_add_f16_e32 v5, v8, v9
	v_add_f16_e32 v29, v4, v30
	;; [unrolled: 1-line block ×4, first 2 shown]
	v_sub_f16_e32 v30, v4, v30
	v_sub_f16_e32 v39, v7, v24
	;; [unrolled: 1-line block ×3, first 2 shown]
	v_add_f16_e32 v4, v6, v8
	v_fma_f16 v6, v5, -0.5, v6
	v_sub_f16_e32 v7, v27, v20
	v_add_f16_e32 v11, v34, v35
	v_fma_f16 v5, v7, s3, v6
	v_fma_f16 v6, v7, s2, v6
	v_add_f16_e32 v7, v21, v27
	v_add_f16_e32 v10, v27, v20
	v_fma_f16 v11, v11, -0.5, v33
	v_sub_f16_e32 v12, v25, v15
	v_add_f16_e32 v7, v7, v20
	v_fma_f16 v10, v10, -0.5, v21
	v_fma_f16 v20, v12, s3, v11
	v_fma_f16 v21, v12, s2, v11
	v_add_f16_e32 v12, v25, v15
	v_add_f16_e32 v41, v13, v36
	v_sub_f16_e32 v36, v13, v36
	v_add_f16_e32 v11, v26, v25
	v_fma_f16 v12, v12, -0.5, v26
	v_sub_f16_e32 v13, v34, v35
	v_add_f16_e32 v11, v11, v15
	v_fma_f16 v15, v13, s2, v12
	v_fma_f16 v24, v13, s3, v12
	v_mul_f16_e32 v12, 0xbaee, v15
	v_mul_f16_e32 v15, 0.5, v15
	v_sub_f16_e32 v8, v8, v9
	v_fma_f16 v27, v20, s2, v15
	v_mul_f16_e32 v15, -0.5, v24
	v_add_f16_e32 v4, v4, v9
	v_fma_f16 v9, v8, s2, v10
	v_fma_f16 v10, v8, s3, v10
	v_add_f16_e32 v8, v33, v34
	v_fma_f16 v28, v21, s2, v15
	v_mov_b32_e32 v33, 0x5a0
	v_cmp_lt_u32_e64 s[2:3], 59, v0
	v_cndmask_b32_e64 v33, 0, v33, s[2:3]
	v_add_u32_e32 v33, 0, v33
	v_lshlrev_b32_e32 v34, 2, v37
	v_mul_f16_e32 v13, 0xbaee, v24
	v_add3_u32 v33, v33, v34, v17
	v_pack_b32_f16 v29, v29, v41
	v_pack_b32_f16 v34, v38, v42
	v_add_f16_e32 v8, v8, v35
	v_fma_f16 v12, v20, 0.5, v12
	v_fma_f16 v13, v21, -0.5, v13
	ds_write2_b32 v33, v29, v34 offset1:60
	v_pack_b32_f16 v29, v40, v43
	v_pack_b32_f16 v30, v30, v36
	v_sub_f16_e32 v15, v4, v8
	v_sub_f16_e32 v24, v5, v12
	;; [unrolled: 1-line block ×6, first 2 shown]
	ds_write2_b32 v33, v29, v30 offset0:120 offset1:180
	v_pack_b32_f16 v29, v31, v39
	v_pack_b32_f16 v30, v32, v44
	v_add_u32_e32 v31, 0x200, v33
	ds_write2_b32 v31, v29, v30 offset0:112 offset1:172
	s_and_saveexec_b64 s[2:3], vcc
	s_cbranch_execz .LBB0_23
; %bb.22:
	v_add_f16_e32 v7, v7, v11
	v_mov_b32_e32 v11, 2
	v_add_f16_e32 v9, v9, v27
	v_add_f16_e32 v5, v5, v12
	;; [unrolled: 1-line block ×3, first 2 shown]
	v_mad_u32_u24 v8, v22, s4, 0
	v_lshlrev_b32_sdwa v11, v11, v23 dst_sel:DWORD dst_unused:UNUSED_PAD src0_sel:DWORD src1_sel:BYTE_0
	v_add_f16_e32 v10, v10, v28
	v_add_f16_e32 v6, v6, v13
	v_add3_u32 v8, v8, v11, v17
	v_pack_b32_f16 v4, v4, v7
	v_pack_b32_f16 v5, v5, v9
	s_mov_b32 s4, 0x5040100
	ds_write2_b32 v8, v4, v5 offset1:60
	v_pack_b32_f16 v4, v6, v10
	v_perm_b32 v5, v20, v15, s4
	ds_write2_b32 v8, v4, v5 offset0:120 offset1:180
	v_perm_b32 v4, v26, v24, s4
	v_perm_b32 v5, v25, v21, s4
	v_add_u32_e32 v6, 0x200, v8
	ds_write2_b32 v6, v4, v5 offset0:112 offset1:172
.LBB0_23:
	s_or_b64 exec, exec, s[2:3]
	v_add_u32_e32 v4, 0x400, v1
	s_waitcnt lgkmcnt(0)
	s_barrier
	ds_read2_b32 v[8:9], v4 offset0:104 offset1:212
	v_add_u32_e32 v4, 0x800, v1
	v_add_u32_e32 v6, 0xc00, v1
	ds_read_b32 v18, v18
	ds_read2_b32 v[10:11], v4 offset0:64 offset1:208
	ds_read2_b32 v[4:5], v1 offset0:108 offset1:216
	;; [unrolled: 1-line block ×3, first 2 shown]
	v_mul_i32_i24_e32 v22, 0xffffffec, v0
	v_cmp_gt_u32_e32 vcc, 36, v0
	s_and_saveexec_b64 s[2:3], vcc
	s_cbranch_execz .LBB0_25
; %bb.24:
	ds_read_b32 v15, v1 offset:1296
	ds_read_b32 v21, v1 offset:4176
	;; [unrolled: 1-line block ×3, first 2 shown]
	s_waitcnt lgkmcnt(2)
	v_lshrrev_b32_e32 v20, 16, v15
	s_waitcnt lgkmcnt(1)
	v_lshrrev_b32_e32 v25, 16, v21
	s_waitcnt lgkmcnt(0)
	v_lshrrev_b32_e32 v26, 16, v24
.LBB0_25:
	s_or_b64 exec, exec, s[2:3]
	v_lshlrev_b32_e32 v6, 1, v0
	v_mov_b32_e32 v7, 0
	v_lshlrev_b64 v[27:28], 2, v[6:7]
	v_lshlrev_b32_e32 v29, 1, v14
	v_mov_b32_e32 v30, v7
	v_mov_b32_e32 v23, s9
	v_add_co_u32_e64 v27, s[2:3], s8, v27
	v_lshlrev_b64 v[29:30], 2, v[29:30]
	v_addc_co_u32_e64 v28, s[2:3], v23, v28, s[2:3]
	v_add_u32_e32 v6, 0x1b0, v6
	v_add_co_u32_e64 v29, s[2:3], s8, v29
	v_lshlrev_b64 v[31:32], 2, v[6:7]
	v_addc_co_u32_e64 v30, s[2:3], v23, v30, s[2:3]
	v_add_co_u32_e64 v31, s[2:3], s8, v31
	global_load_dwordx2 v[27:28], v[27:28], off offset:1416
	v_addc_co_u32_e64 v32, s[2:3], v23, v32, s[2:3]
	global_load_dwordx2 v[29:30], v[29:30], off offset:1416
	s_waitcnt lgkmcnt(2)
	v_lshrrev_b32_e32 v35, 16, v11
	global_load_dwordx2 v[31:32], v[31:32], off offset:1416
	v_lshrrev_b32_e32 v36, 16, v8
	v_add3_u32 v17, v19, v22, v17
	s_waitcnt lgkmcnt(0)
	v_lshrrev_b32_e32 v19, 16, v13
	v_lshrrev_b32_e32 v33, 16, v12
	;; [unrolled: 1-line block ×6, first 2 shown]
	s_mov_b32 s4, 0xbaee
	s_movk_i32 s5, 0x3aee
	v_lshrrev_b32_e32 v23, 16, v5
	s_waitcnt vmcnt(0)
	s_barrier
	v_mul_f16_sdwa v37, v27, v36 dst_sel:DWORD dst_unused:UNUSED_PAD src0_sel:WORD_1 src1_sel:DWORD
	v_mul_f16_sdwa v38, v27, v8 dst_sel:DWORD dst_unused:UNUSED_PAD src0_sel:WORD_1 src1_sel:DWORD
	;; [unrolled: 1-line block ×4, first 2 shown]
	v_fma_f16 v8, v27, v8, v37
	v_fma_f16 v27, v27, v36, -v38
	v_fma_f16 v11, v28, v11, v39
	v_fma_f16 v28, v28, v35, -v40
	v_mul_f16_sdwa v35, v29, v34 dst_sel:DWORD dst_unused:UNUSED_PAD src0_sel:WORD_1 src1_sel:DWORD
	v_mul_f16_sdwa v36, v29, v9 dst_sel:DWORD dst_unused:UNUSED_PAD src0_sel:WORD_1 src1_sel:DWORD
	;; [unrolled: 1-line block ×8, first 2 shown]
	v_fma_f16 v9, v29, v9, v35
	v_fma_f16 v29, v29, v34, -v36
	v_fma_f16 v12, v30, v12, v37
	v_fma_f16 v30, v30, v33, -v38
	;; [unrolled: 2-line block ×3, first 2 shown]
	v_add_f16_e32 v32, v8, v11
	v_add_f16_e32 v34, v6, v27
	v_fma_f16 v10, v31, v10, v39
	v_fma_f16 v22, v31, v22, -v40
	v_add_f16_e32 v31, v18, v8
	v_sub_f16_e32 v33, v27, v28
	v_add_f16_e32 v27, v27, v28
	v_fma_f16 v18, v32, -0.5, v18
	v_add_f16_e32 v28, v34, v28
	v_sub_f16_e32 v32, v29, v30
	v_add_f16_e32 v34, v14, v29
	v_add_f16_e32 v29, v29, v30
	v_sub_f16_e32 v8, v8, v11
	v_add_f16_e32 v11, v31, v11
	v_fma_f16 v6, v27, -0.5, v6
	v_add_f16_e32 v27, v4, v9
	v_add_f16_e32 v31, v9, v12
	v_sub_f16_e32 v9, v9, v12
	v_fma_f16 v14, v29, -0.5, v14
	v_fma_f16 v36, v33, s4, v18
	v_fma_f16 v18, v33, s5, v18
	;; [unrolled: 1-line block ×4, first 2 shown]
	v_add_f16_e32 v8, v27, v12
	v_add_f16_e32 v12, v34, v30
	v_fma_f16 v30, v9, s5, v14
	v_fma_f16 v9, v9, s4, v14
	v_add_f16_e32 v14, v10, v13
	v_add_f16_e32 v35, v5, v10
	v_fma_f16 v5, v14, -0.5, v5
	v_sub_f16_e32 v14, v22, v19
	v_fma_f16 v4, v31, -0.5, v4
	v_fma_f16 v31, v14, s4, v5
	v_fma_f16 v5, v14, s5, v5
	v_add_f16_e32 v14, v23, v22
	v_add_f16_e32 v14, v14, v19
	;; [unrolled: 1-line block ×3, first 2 shown]
	v_fma_f16 v19, v19, -0.5, v23
	v_sub_f16_e32 v10, v10, v13
	v_pack_b32_f16 v6, v18, v6
	v_add_f16_e32 v27, v35, v13
	v_fma_f16 v29, v32, s4, v4
	v_fma_f16 v4, v32, s5, v4
	;; [unrolled: 1-line block ×4, first 2 shown]
	v_pack_b32_f16 v11, v11, v28
	v_pack_b32_f16 v19, v36, v33
	ds_write_b32 v1, v6 offset:2880
	v_pack_b32_f16 v6, v8, v12
	ds_write_b32 v1, v19 offset:1440
	ds_write2_b32 v1, v11, v6 offset1:108
	ds_write_b16 v17, v29 offset:1872
	ds_write_b16 v17, v30 offset:1874
	;; [unrolled: 1-line block ×4, first 2 shown]
	v_pack_b32_f16 v4, v27, v14
	ds_write_b32 v1, v4 offset:864
	ds_write_b16 v17, v31 offset:2304
	ds_write_b16 v17, v13 offset:2306
	;; [unrolled: 1-line block ×4, first 2 shown]
	s_and_saveexec_b64 s[2:3], vcc
	s_cbranch_execz .LBB0_27
; %bb.26:
	v_not_b32_e32 v4, 35
	v_mov_b32_e32 v5, 0x144
	v_cndmask_b32_e32 v4, v4, v5, vcc
	v_add_lshl_u32 v6, v0, v4, 1
	v_lshlrev_b64 v[4:5], 2, v[6:7]
	v_mov_b32_e32 v6, s9
	v_add_co_u32_e32 v4, vcc, s8, v4
	v_addc_co_u32_e32 v5, vcc, v6, v5, vcc
	global_load_dwordx2 v[4:5], v[4:5], off offset:1416
	s_waitcnt vmcnt(0)
	v_mul_f16_sdwa v6, v24, v4 dst_sel:DWORD dst_unused:UNUSED_PAD src0_sel:DWORD src1_sel:WORD_1
	v_mul_f16_sdwa v7, v21, v5 dst_sel:DWORD dst_unused:UNUSED_PAD src0_sel:DWORD src1_sel:WORD_1
	;; [unrolled: 1-line block ×4, first 2 shown]
	v_fma_f16 v6, v26, v4, -v6
	v_fma_f16 v7, v25, v5, -v7
	v_fma_f16 v4, v24, v4, v8
	v_fma_f16 v5, v21, v5, v9
	v_add_f16_e32 v8, v6, v7
	v_sub_f16_e32 v9, v4, v5
	v_add_f16_e32 v10, v20, v6
	v_add_f16_e32 v11, v4, v5
	;; [unrolled: 1-line block ×3, first 2 shown]
	v_sub_f16_e32 v6, v6, v7
	v_fma_f16 v8, v8, -0.5, v20
	v_add_f16_e32 v7, v10, v7
	v_fma_f16 v10, v11, -0.5, v15
	v_add_f16_e32 v4, v4, v5
	v_fma_f16 v5, v9, s4, v8
	v_fma_f16 v8, v9, s5, v8
	;; [unrolled: 1-line block ×4, first 2 shown]
	v_pack_b32_f16 v4, v4, v7
	ds_write_b32 v1, v4 offset:1296
	v_pack_b32_f16 v4, v6, v8
	v_pack_b32_f16 v5, v9, v5
	ds_write_b32 v1, v4 offset:2736
	ds_write_b32 v1, v5 offset:4176
.LBB0_27:
	s_or_b64 exec, exec, s[2:3]
	s_waitcnt lgkmcnt(0)
	s_barrier
	s_and_saveexec_b64 s[2:3], s[0:1]
	s_cbranch_execz .LBB0_29
; %bb.28:
	v_lshl_add_u32 v6, v0, 2, v16
	v_mov_b32_e32 v1, 0
	ds_read2_b32 v[4:5], v6 offset1:108
	v_mov_b32_e32 v7, s13
	v_add_co_u32_e32 v8, vcc, s12, v2
	v_addc_co_u32_e32 v7, vcc, v7, v3, vcc
	v_lshlrev_b64 v[2:3], 2, v[0:1]
	v_add_co_u32_e32 v2, vcc, v8, v2
	v_addc_co_u32_e32 v3, vcc, v7, v3, vcc
	s_waitcnt lgkmcnt(0)
	global_store_dword v[2:3], v4, off
	v_add_u32_e32 v2, 0x6c, v0
	v_mov_b32_e32 v3, v1
	v_lshlrev_b64 v[2:3], 2, v[2:3]
	v_add_u32_e32 v4, 0x200, v6
	v_add_co_u32_e32 v2, vcc, v8, v2
	v_addc_co_u32_e32 v3, vcc, v7, v3, vcc
	global_store_dword v[2:3], v5, off
	v_add_u32_e32 v2, 0xd8, v0
	v_mov_b32_e32 v3, v1
	ds_read2_b32 v[4:5], v4 offset0:88 offset1:196
	v_lshlrev_b64 v[2:3], 2, v[2:3]
	v_add_co_u32_e32 v2, vcc, v8, v2
	v_addc_co_u32_e32 v3, vcc, v7, v3, vcc
	s_waitcnt lgkmcnt(0)
	global_store_dword v[2:3], v4, off
	v_add_u32_e32 v2, 0x144, v0
	v_mov_b32_e32 v3, v1
	v_lshlrev_b64 v[2:3], 2, v[2:3]
	v_add_u32_e32 v4, 0x600, v6
	v_add_co_u32_e32 v2, vcc, v8, v2
	v_addc_co_u32_e32 v3, vcc, v7, v3, vcc
	global_store_dword v[2:3], v5, off
	v_add_u32_e32 v2, 0x1b0, v0
	v_mov_b32_e32 v3, v1
	ds_read2_b32 v[4:5], v4 offset0:48 offset1:156
	;; [unrolled: 15-line block ×3, first 2 shown]
	v_lshlrev_b64 v[2:3], 2, v[2:3]
	v_add_co_u32_e32 v2, vcc, v8, v2
	v_addc_co_u32_e32 v3, vcc, v7, v3, vcc
	s_waitcnt lgkmcnt(0)
	global_store_dword v[2:3], v4, off
	v_add_u32_e32 v2, 0x2f4, v0
	v_mov_b32_e32 v3, v1
	v_lshlrev_b64 v[2:3], 2, v[2:3]
	v_add_u32_e32 v4, 0xc00, v6
	v_add_co_u32_e32 v2, vcc, v8, v2
	v_addc_co_u32_e32 v3, vcc, v7, v3, vcc
	global_store_dword v[2:3], v5, off
	v_add_u32_e32 v2, 0x360, v0
	v_mov_b32_e32 v3, v1
	v_lshlrev_b64 v[2:3], 2, v[2:3]
	ds_read2_b32 v[4:5], v4 offset0:96 offset1:204
	v_add_u32_e32 v0, 0x3cc, v0
	v_add_co_u32_e32 v2, vcc, v8, v2
	v_lshlrev_b64 v[0:1], 2, v[0:1]
	v_addc_co_u32_e32 v3, vcc, v7, v3, vcc
	v_add_co_u32_e32 v0, vcc, v8, v0
	v_addc_co_u32_e32 v1, vcc, v7, v1, vcc
	s_waitcnt lgkmcnt(0)
	global_store_dword v[2:3], v4, off
	global_store_dword v[0:1], v5, off
.LBB0_29:
	s_endpgm
	.section	.rodata,"a",@progbits
	.p2align	6, 0x0
	.amdhsa_kernel fft_rtc_back_len1080_factors_6_10_6_3_wgs_216_tpt_108_halfLds_half_ip_CI_unitstride_sbrr_C2R_dirReg
		.amdhsa_group_segment_fixed_size 0
		.amdhsa_private_segment_fixed_size 0
		.amdhsa_kernarg_size 88
		.amdhsa_user_sgpr_count 6
		.amdhsa_user_sgpr_private_segment_buffer 1
		.amdhsa_user_sgpr_dispatch_ptr 0
		.amdhsa_user_sgpr_queue_ptr 0
		.amdhsa_user_sgpr_kernarg_segment_ptr 1
		.amdhsa_user_sgpr_dispatch_id 0
		.amdhsa_user_sgpr_flat_scratch_init 0
		.amdhsa_user_sgpr_private_segment_size 0
		.amdhsa_uses_dynamic_stack 0
		.amdhsa_system_sgpr_private_segment_wavefront_offset 0
		.amdhsa_system_sgpr_workgroup_id_x 1
		.amdhsa_system_sgpr_workgroup_id_y 0
		.amdhsa_system_sgpr_workgroup_id_z 0
		.amdhsa_system_sgpr_workgroup_info 0
		.amdhsa_system_vgpr_workitem_id 0
		.amdhsa_next_free_vgpr 56
		.amdhsa_next_free_sgpr 22
		.amdhsa_reserve_vcc 1
		.amdhsa_reserve_flat_scratch 0
		.amdhsa_float_round_mode_32 0
		.amdhsa_float_round_mode_16_64 0
		.amdhsa_float_denorm_mode_32 3
		.amdhsa_float_denorm_mode_16_64 3
		.amdhsa_dx10_clamp 1
		.amdhsa_ieee_mode 1
		.amdhsa_fp16_overflow 0
		.amdhsa_exception_fp_ieee_invalid_op 0
		.amdhsa_exception_fp_denorm_src 0
		.amdhsa_exception_fp_ieee_div_zero 0
		.amdhsa_exception_fp_ieee_overflow 0
		.amdhsa_exception_fp_ieee_underflow 0
		.amdhsa_exception_fp_ieee_inexact 0
		.amdhsa_exception_int_div_zero 0
	.end_amdhsa_kernel
	.text
.Lfunc_end0:
	.size	fft_rtc_back_len1080_factors_6_10_6_3_wgs_216_tpt_108_halfLds_half_ip_CI_unitstride_sbrr_C2R_dirReg, .Lfunc_end0-fft_rtc_back_len1080_factors_6_10_6_3_wgs_216_tpt_108_halfLds_half_ip_CI_unitstride_sbrr_C2R_dirReg
                                        ; -- End function
	.section	.AMDGPU.csdata,"",@progbits
; Kernel info:
; codeLenInByte = 7876
; NumSgprs: 26
; NumVgprs: 56
; ScratchSize: 0
; MemoryBound: 0
; FloatMode: 240
; IeeeMode: 1
; LDSByteSize: 0 bytes/workgroup (compile time only)
; SGPRBlocks: 3
; VGPRBlocks: 13
; NumSGPRsForWavesPerEU: 26
; NumVGPRsForWavesPerEU: 56
; Occupancy: 4
; WaveLimiterHint : 1
; COMPUTE_PGM_RSRC2:SCRATCH_EN: 0
; COMPUTE_PGM_RSRC2:USER_SGPR: 6
; COMPUTE_PGM_RSRC2:TRAP_HANDLER: 0
; COMPUTE_PGM_RSRC2:TGID_X_EN: 1
; COMPUTE_PGM_RSRC2:TGID_Y_EN: 0
; COMPUTE_PGM_RSRC2:TGID_Z_EN: 0
; COMPUTE_PGM_RSRC2:TIDIG_COMP_CNT: 0
	.type	__hip_cuid_86a01574ad0b028d,@object ; @__hip_cuid_86a01574ad0b028d
	.section	.bss,"aw",@nobits
	.globl	__hip_cuid_86a01574ad0b028d
__hip_cuid_86a01574ad0b028d:
	.byte	0                               ; 0x0
	.size	__hip_cuid_86a01574ad0b028d, 1

	.ident	"AMD clang version 19.0.0git (https://github.com/RadeonOpenCompute/llvm-project roc-6.4.0 25133 c7fe45cf4b819c5991fe208aaa96edf142730f1d)"
	.section	".note.GNU-stack","",@progbits
	.addrsig
	.addrsig_sym __hip_cuid_86a01574ad0b028d
	.amdgpu_metadata
---
amdhsa.kernels:
  - .args:
      - .actual_access:  read_only
        .address_space:  global
        .offset:         0
        .size:           8
        .value_kind:     global_buffer
      - .offset:         8
        .size:           8
        .value_kind:     by_value
      - .actual_access:  read_only
        .address_space:  global
        .offset:         16
        .size:           8
        .value_kind:     global_buffer
      - .actual_access:  read_only
        .address_space:  global
        .offset:         24
        .size:           8
        .value_kind:     global_buffer
      - .offset:         32
        .size:           8
        .value_kind:     by_value
      - .actual_access:  read_only
        .address_space:  global
        .offset:         40
        .size:           8
        .value_kind:     global_buffer
      - .actual_access:  read_only
        .address_space:  global
        .offset:         48
        .size:           8
        .value_kind:     global_buffer
      - .offset:         56
        .size:           4
        .value_kind:     by_value
      - .actual_access:  read_only
        .address_space:  global
        .offset:         64
        .size:           8
        .value_kind:     global_buffer
      - .actual_access:  read_only
        .address_space:  global
        .offset:         72
        .size:           8
        .value_kind:     global_buffer
      - .address_space:  global
        .offset:         80
        .size:           8
        .value_kind:     global_buffer
    .group_segment_fixed_size: 0
    .kernarg_segment_align: 8
    .kernarg_segment_size: 88
    .language:       OpenCL C
    .language_version:
      - 2
      - 0
    .max_flat_workgroup_size: 216
    .name:           fft_rtc_back_len1080_factors_6_10_6_3_wgs_216_tpt_108_halfLds_half_ip_CI_unitstride_sbrr_C2R_dirReg
    .private_segment_fixed_size: 0
    .sgpr_count:     26
    .sgpr_spill_count: 0
    .symbol:         fft_rtc_back_len1080_factors_6_10_6_3_wgs_216_tpt_108_halfLds_half_ip_CI_unitstride_sbrr_C2R_dirReg.kd
    .uniform_work_group_size: 1
    .uses_dynamic_stack: false
    .vgpr_count:     56
    .vgpr_spill_count: 0
    .wavefront_size: 64
amdhsa.target:   amdgcn-amd-amdhsa--gfx906
amdhsa.version:
  - 1
  - 2
...

	.end_amdgpu_metadata
